;; amdgpu-corpus repo=ROCm/rocFFT kind=compiled arch=gfx906 opt=O3
	.text
	.amdgcn_target "amdgcn-amd-amdhsa--gfx906"
	.amdhsa_code_object_version 6
	.protected	fft_rtc_fwd_len768_factors_16_3_16_wgs_48_tpt_48_halfLds_dp_op_CI_CI_unitstride_sbrr_R2C_dirReg ; -- Begin function fft_rtc_fwd_len768_factors_16_3_16_wgs_48_tpt_48_halfLds_dp_op_CI_CI_unitstride_sbrr_R2C_dirReg
	.globl	fft_rtc_fwd_len768_factors_16_3_16_wgs_48_tpt_48_halfLds_dp_op_CI_CI_unitstride_sbrr_R2C_dirReg
	.p2align	8
	.type	fft_rtc_fwd_len768_factors_16_3_16_wgs_48_tpt_48_halfLds_dp_op_CI_CI_unitstride_sbrr_R2C_dirReg,@function
fft_rtc_fwd_len768_factors_16_3_16_wgs_48_tpt_48_halfLds_dp_op_CI_CI_unitstride_sbrr_R2C_dirReg: ; @fft_rtc_fwd_len768_factors_16_3_16_wgs_48_tpt_48_halfLds_dp_op_CI_CI_unitstride_sbrr_R2C_dirReg
; %bb.0:
	s_load_dwordx4 s[8:11], s[4:5], 0x58
	s_load_dwordx4 s[12:15], s[4:5], 0x0
	;; [unrolled: 1-line block ×3, first 2 shown]
	v_mul_u32_u24_e32 v1, 0x556, v0
	v_add_u32_sdwa v5, s6, v1 dst_sel:DWORD dst_unused:UNUSED_PAD src0_sel:DWORD src1_sel:WORD_1
	v_mov_b32_e32 v3, 0
	s_waitcnt lgkmcnt(0)
	v_cmp_lt_u64_e64 s[0:1], s[14:15], 2
	v_mov_b32_e32 v1, 0
	v_mov_b32_e32 v6, v3
	s_and_b64 vcc, exec, s[0:1]
	v_mov_b32_e32 v2, 0
	s_cbranch_vccnz .LBB0_8
; %bb.1:
	s_load_dwordx2 s[0:1], s[4:5], 0x10
	s_add_u32 s2, s18, 8
	s_addc_u32 s3, s19, 0
	s_add_u32 s6, s16, 8
	v_mov_b32_e32 v1, 0
	s_addc_u32 s7, s17, 0
	v_mov_b32_e32 v2, 0
	s_waitcnt lgkmcnt(0)
	s_add_u32 s20, s0, 8
	v_mov_b32_e32 v81, v2
	s_addc_u32 s21, s1, 0
	s_mov_b64 s[22:23], 1
	v_mov_b32_e32 v80, v1
.LBB0_2:                                ; =>This Inner Loop Header: Depth=1
	s_load_dwordx2 s[24:25], s[20:21], 0x0
                                        ; implicit-def: $vgpr84_vgpr85
	s_waitcnt lgkmcnt(0)
	v_or_b32_e32 v4, s25, v6
	v_cmp_ne_u64_e32 vcc, 0, v[3:4]
	s_and_saveexec_b64 s[0:1], vcc
	s_xor_b64 s[26:27], exec, s[0:1]
	s_cbranch_execz .LBB0_4
; %bb.3:                                ;   in Loop: Header=BB0_2 Depth=1
	v_cvt_f32_u32_e32 v4, s24
	v_cvt_f32_u32_e32 v7, s25
	s_sub_u32 s0, 0, s24
	s_subb_u32 s1, 0, s25
	v_mac_f32_e32 v4, 0x4f800000, v7
	v_rcp_f32_e32 v4, v4
	v_mul_f32_e32 v4, 0x5f7ffffc, v4
	v_mul_f32_e32 v7, 0x2f800000, v4
	v_trunc_f32_e32 v7, v7
	v_mac_f32_e32 v4, 0xcf800000, v7
	v_cvt_u32_f32_e32 v7, v7
	v_cvt_u32_f32_e32 v4, v4
	v_mul_lo_u32 v8, s0, v7
	v_mul_hi_u32 v9, s0, v4
	v_mul_lo_u32 v11, s1, v4
	v_mul_lo_u32 v10, s0, v4
	v_add_u32_e32 v8, v9, v8
	v_add_u32_e32 v8, v8, v11
	v_mul_hi_u32 v9, v4, v10
	v_mul_lo_u32 v11, v4, v8
	v_mul_hi_u32 v13, v4, v8
	v_mul_hi_u32 v12, v7, v10
	v_mul_lo_u32 v10, v7, v10
	v_mul_hi_u32 v14, v7, v8
	v_add_co_u32_e32 v9, vcc, v9, v11
	v_addc_co_u32_e32 v11, vcc, 0, v13, vcc
	v_mul_lo_u32 v8, v7, v8
	v_add_co_u32_e32 v9, vcc, v9, v10
	v_addc_co_u32_e32 v9, vcc, v11, v12, vcc
	v_addc_co_u32_e32 v10, vcc, 0, v14, vcc
	v_add_co_u32_e32 v8, vcc, v9, v8
	v_addc_co_u32_e32 v9, vcc, 0, v10, vcc
	v_add_co_u32_e32 v4, vcc, v4, v8
	v_addc_co_u32_e32 v7, vcc, v7, v9, vcc
	v_mul_lo_u32 v8, s0, v7
	v_mul_hi_u32 v9, s0, v4
	v_mul_lo_u32 v10, s1, v4
	v_mul_lo_u32 v11, s0, v4
	v_add_u32_e32 v8, v9, v8
	v_add_u32_e32 v8, v8, v10
	v_mul_lo_u32 v12, v4, v8
	v_mul_hi_u32 v13, v4, v11
	v_mul_hi_u32 v14, v4, v8
	v_mul_hi_u32 v10, v7, v11
	v_mul_lo_u32 v11, v7, v11
	v_mul_hi_u32 v9, v7, v8
	v_add_co_u32_e32 v12, vcc, v13, v12
	v_addc_co_u32_e32 v13, vcc, 0, v14, vcc
	v_mul_lo_u32 v8, v7, v8
	v_add_co_u32_e32 v11, vcc, v12, v11
	v_addc_co_u32_e32 v10, vcc, v13, v10, vcc
	v_addc_co_u32_e32 v9, vcc, 0, v9, vcc
	v_add_co_u32_e32 v8, vcc, v10, v8
	v_addc_co_u32_e32 v9, vcc, 0, v9, vcc
	v_add_co_u32_e32 v4, vcc, v4, v8
	v_addc_co_u32_e32 v9, vcc, v7, v9, vcc
	v_mad_u64_u32 v[7:8], s[0:1], v5, v9, 0
	v_mul_hi_u32 v10, v5, v4
	v_add_co_u32_e32 v11, vcc, v10, v7
	v_addc_co_u32_e32 v12, vcc, 0, v8, vcc
	v_mad_u64_u32 v[7:8], s[0:1], v6, v4, 0
	v_mad_u64_u32 v[9:10], s[0:1], v6, v9, 0
	v_add_co_u32_e32 v4, vcc, v11, v7
	v_addc_co_u32_e32 v4, vcc, v12, v8, vcc
	v_addc_co_u32_e32 v7, vcc, 0, v10, vcc
	v_add_co_u32_e32 v4, vcc, v4, v9
	v_addc_co_u32_e32 v9, vcc, 0, v7, vcc
	v_mul_lo_u32 v10, s25, v4
	v_mul_lo_u32 v11, s24, v9
	v_mad_u64_u32 v[7:8], s[0:1], s24, v4, 0
	v_add3_u32 v8, v8, v11, v10
	v_sub_u32_e32 v10, v6, v8
	v_mov_b32_e32 v11, s25
	v_sub_co_u32_e32 v7, vcc, v5, v7
	v_subb_co_u32_e64 v10, s[0:1], v10, v11, vcc
	v_subrev_co_u32_e64 v11, s[0:1], s24, v7
	v_subbrev_co_u32_e64 v10, s[0:1], 0, v10, s[0:1]
	v_cmp_le_u32_e64 s[0:1], s25, v10
	v_cndmask_b32_e64 v12, 0, -1, s[0:1]
	v_cmp_le_u32_e64 s[0:1], s24, v11
	v_cndmask_b32_e64 v11, 0, -1, s[0:1]
	v_cmp_eq_u32_e64 s[0:1], s25, v10
	v_cndmask_b32_e64 v10, v12, v11, s[0:1]
	v_add_co_u32_e64 v11, s[0:1], 2, v4
	v_addc_co_u32_e64 v12, s[0:1], 0, v9, s[0:1]
	v_add_co_u32_e64 v13, s[0:1], 1, v4
	v_addc_co_u32_e64 v14, s[0:1], 0, v9, s[0:1]
	v_subb_co_u32_e32 v8, vcc, v6, v8, vcc
	v_cmp_ne_u32_e64 s[0:1], 0, v10
	v_cmp_le_u32_e32 vcc, s25, v8
	v_cndmask_b32_e64 v10, v14, v12, s[0:1]
	v_cndmask_b32_e64 v12, 0, -1, vcc
	v_cmp_le_u32_e32 vcc, s24, v7
	v_cndmask_b32_e64 v7, 0, -1, vcc
	v_cmp_eq_u32_e32 vcc, s25, v8
	v_cndmask_b32_e32 v7, v12, v7, vcc
	v_cmp_ne_u32_e32 vcc, 0, v7
	v_cndmask_b32_e64 v7, v13, v11, s[0:1]
	v_cndmask_b32_e32 v85, v9, v10, vcc
	v_cndmask_b32_e32 v84, v4, v7, vcc
.LBB0_4:                                ;   in Loop: Header=BB0_2 Depth=1
	s_andn2_saveexec_b64 s[0:1], s[26:27]
	s_cbranch_execz .LBB0_6
; %bb.5:                                ;   in Loop: Header=BB0_2 Depth=1
	v_cvt_f32_u32_e32 v4, s24
	s_sub_i32 s26, 0, s24
	v_mov_b32_e32 v85, v3
	v_rcp_iflag_f32_e32 v4, v4
	v_mul_f32_e32 v4, 0x4f7ffffe, v4
	v_cvt_u32_f32_e32 v4, v4
	v_mul_lo_u32 v7, s26, v4
	v_mul_hi_u32 v7, v4, v7
	v_add_u32_e32 v4, v4, v7
	v_mul_hi_u32 v4, v5, v4
	v_mul_lo_u32 v7, v4, s24
	v_add_u32_e32 v8, 1, v4
	v_sub_u32_e32 v7, v5, v7
	v_subrev_u32_e32 v9, s24, v7
	v_cmp_le_u32_e32 vcc, s24, v7
	v_cndmask_b32_e32 v7, v7, v9, vcc
	v_cndmask_b32_e32 v4, v4, v8, vcc
	v_add_u32_e32 v8, 1, v4
	v_cmp_le_u32_e32 vcc, s24, v7
	v_cndmask_b32_e32 v84, v4, v8, vcc
.LBB0_6:                                ;   in Loop: Header=BB0_2 Depth=1
	s_or_b64 exec, exec, s[0:1]
	v_mul_lo_u32 v4, v85, s24
	v_mul_lo_u32 v9, v84, s25
	v_mad_u64_u32 v[7:8], s[0:1], v84, s24, 0
	s_load_dwordx2 s[0:1], s[6:7], 0x0
	s_load_dwordx2 s[24:25], s[2:3], 0x0
	v_add3_u32 v4, v8, v9, v4
	v_sub_co_u32_e32 v5, vcc, v5, v7
	v_subb_co_u32_e32 v4, vcc, v6, v4, vcc
	s_waitcnt lgkmcnt(0)
	v_mul_lo_u32 v6, s0, v4
	v_mul_lo_u32 v7, s1, v5
	v_mad_u64_u32 v[1:2], s[0:1], s0, v5, v[1:2]
	v_mul_lo_u32 v4, s24, v4
	v_mul_lo_u32 v8, s25, v5
	v_mad_u64_u32 v[80:81], s[0:1], s24, v5, v[80:81]
	s_add_u32 s22, s22, 1
	s_addc_u32 s23, s23, 0
	s_add_u32 s2, s2, 8
	v_add3_u32 v81, v8, v81, v4
	s_addc_u32 s3, s3, 0
	v_mov_b32_e32 v4, s14
	s_add_u32 s6, s6, 8
	v_mov_b32_e32 v5, s15
	s_addc_u32 s7, s7, 0
	v_cmp_ge_u64_e32 vcc, s[22:23], v[4:5]
	s_add_u32 s20, s20, 8
	v_add3_u32 v2, v7, v2, v6
	s_addc_u32 s21, s21, 0
	s_cbranch_vccnz .LBB0_9
; %bb.7:                                ;   in Loop: Header=BB0_2 Depth=1
	v_mov_b32_e32 v5, v84
	v_mov_b32_e32 v6, v85
	s_branch .LBB0_2
.LBB0_8:
	v_mov_b32_e32 v81, v2
	v_mov_b32_e32 v85, v6
	;; [unrolled: 1-line block ×4, first 2 shown]
.LBB0_9:
	s_load_dwordx2 s[0:1], s[4:5], 0x28
	s_lshl_b64 s[6:7], s[14:15], 3
	s_add_u32 s2, s18, s6
	s_addc_u32 s3, s19, s7
                                        ; implicit-def: $vgpr82
                                        ; implicit-def: $vgpr86
                                        ; implicit-def: $vgpr91
                                        ; implicit-def: $vgpr90
                                        ; implicit-def: $vgpr89
                                        ; implicit-def: $vgpr88
	s_waitcnt lgkmcnt(0)
	v_cmp_gt_u64_e32 vcc, s[0:1], v[84:85]
	v_cmp_le_u64_e64 s[0:1], s[0:1], v[84:85]
	s_and_saveexec_b64 s[4:5], s[0:1]
	s_xor_b64 s[0:1], exec, s[4:5]
; %bb.10:
	s_mov_b32 s4, 0x5555556
	v_mul_hi_u32 v1, v0, s4
	v_mul_u32_u24_e32 v1, 48, v1
	v_sub_u32_e32 v82, v0, v1
	v_add_u32_e32 v86, 48, v82
	v_add_u32_e32 v91, 0x60, v82
	;; [unrolled: 1-line block ×3, first 2 shown]
	v_or_b32_e32 v89, 0xc0, v82
	v_add_u32_e32 v88, 0xf0, v82
                                        ; implicit-def: $vgpr0
                                        ; implicit-def: $vgpr1_vgpr2
; %bb.11:
	s_andn2_saveexec_b64 s[4:5], s[0:1]
	s_cbranch_execz .LBB0_13
; %bb.12:
	s_add_u32 s0, s16, s6
	s_addc_u32 s1, s17, s7
	s_load_dwordx2 s[0:1], s[0:1], 0x0
	s_mov_b32 s6, 0x5555556
	v_mul_hi_u32 v5, v0, s6
	s_movk_i32 s6, 0x2000
	s_waitcnt lgkmcnt(0)
	v_mul_lo_u32 v6, s1, v84
	v_mul_lo_u32 v7, s0, v85
	v_mad_u64_u32 v[3:4], s[0:1], s0, v84, 0
	v_mul_u32_u24_e32 v5, 48, v5
	v_sub_u32_e32 v82, v0, v5
	v_add3_u32 v4, v4, v7, v6
	v_lshlrev_b64 v[3:4], 4, v[3:4]
	v_mov_b32_e32 v0, s9
	v_add_co_u32_e64 v3, s[0:1], s8, v3
	v_addc_co_u32_e64 v4, s[0:1], v0, v4, s[0:1]
	v_lshlrev_b64 v[0:1], 4, v[1:2]
	v_lshlrev_b32_e32 v68, 4, v82
	v_add_co_u32_e64 v30, s[0:1], v3, v0
	v_addc_co_u32_e64 v31, s[0:1], v4, v1, s[0:1]
	v_add_co_u32_e64 v32, s[0:1], v30, v68
	v_addc_co_u32_e64 v33, s[0:1], 0, v31, s[0:1]
	v_or_b32_e32 v16, 0x1800, v68
	v_add_co_u32_e64 v28, s[0:1], v30, v16
	global_load_dwordx4 v[0:3], v[32:33], off
	global_load_dwordx4 v[4:7], v[32:33], off offset:768
	global_load_dwordx4 v[8:11], v[32:33], off offset:1536
	;; [unrolled: 1-line block ×3, first 2 shown]
	v_addc_co_u32_e64 v29, s[0:1], 0, v31, s[0:1]
	global_load_dwordx4 v[16:19], v[32:33], off offset:3072
	global_load_dwordx4 v[20:23], v[32:33], off offset:3840
	global_load_dwordx4 v[24:27], v[28:29], off
	v_or_b32_e32 v28, 0x2400, v68
	v_add_co_u32_e64 v28, s[0:1], v30, v28
	v_addc_co_u32_e64 v29, s[0:1], 0, v31, s[0:1]
	v_add_co_u32_e64 v64, s[0:1], s6, v32
	v_addc_co_u32_e64 v65, s[0:1], 0, v33, s[0:1]
	s_movk_i32 s0, 0x1000
	v_add_co_u32_e64 v66, s[0:1], s0, v32
	v_addc_co_u32_e64 v67, s[0:1], 0, v33, s[0:1]
	global_load_dwordx4 v[28:31], v[28:29], off
	s_nop 0
	global_load_dwordx4 v[32:35], v[66:67], off offset:512
	global_load_dwordx4 v[36:39], v[66:67], off offset:1280
	global_load_dwordx4 v[40:43], v[66:67], off offset:2816
	global_load_dwordx4 v[44:47], v[66:67], off offset:3584
	global_load_dwordx4 v[48:51], v[64:65], off offset:256
	global_load_dwordx4 v[52:55], v[64:65], off offset:1792
	global_load_dwordx4 v[56:59], v[64:65], off offset:2560
	global_load_dwordx4 v[60:63], v[64:65], off offset:3328
	v_add_u32_e32 v86, 48, v82
	v_add_u32_e32 v91, 0x60, v82
	v_add_u32_e32 v90, 0x90, v82
	v_or_b32_e32 v89, 0xc0, v82
	v_add_u32_e32 v88, 0xf0, v82
	v_add_u32_e32 v64, 0, v68
	s_waitcnt vmcnt(15)
	ds_write_b128 v64, v[0:3]
	s_waitcnt vmcnt(14)
	ds_write_b128 v64, v[4:7] offset:768
	s_waitcnt vmcnt(13)
	ds_write_b128 v64, v[8:11] offset:1536
	;; [unrolled: 2-line block ×15, first 2 shown]
.LBB0_13:
	s_or_b64 exec, exec, s[4:5]
	v_lshl_add_u32 v93, v82, 4, 0
	s_load_dwordx2 s[2:3], s[2:3], 0x0
	s_waitcnt lgkmcnt(0)
	; wave barrier
	s_waitcnt lgkmcnt(0)
	ds_read_b128 v[0:3], v93 offset:6144
	ds_read_b128 v[4:7], v93
	ds_read_b128 v[8:11], v93 offset:768
	ds_read_b128 v[12:15], v93 offset:6912
	;; [unrolled: 1-line block ×4, first 2 shown]
	s_waitcnt lgkmcnt(4)
	v_add_f64 v[52:53], v[4:5], -v[0:1]
	v_add_f64 v[54:55], v[6:7], -v[2:3]
	ds_read_b128 v[0:3], v93 offset:3840
	ds_read_b128 v[24:27], v93 offset:9984
	s_waitcnt lgkmcnt(4)
	v_add_f64 v[12:13], v[8:9], -v[12:13]
	s_waitcnt lgkmcnt(2)
	v_add_f64 v[56:57], v[20:21], -v[16:17]
	v_add_f64 v[58:59], v[22:23], -v[18:19]
	ds_read_b128 v[16:19], v93 offset:7680
	ds_read_b128 v[28:31], v93 offset:1536
	;; [unrolled: 1-line block ×6, first 2 shown]
	s_waitcnt lgkmcnt(4)
	v_add_f64 v[62:63], v[30:31], -v[18:19]
	v_add_f64 v[60:61], v[28:29], -v[16:17]
	ds_read_b128 v[16:19], v93 offset:5376
	ds_read_b128 v[48:51], v93 offset:11520
	v_fma_f64 v[66:67], v[6:7], 2.0, -v[54:55]
	s_waitcnt lgkmcnt(2)
	v_add_f64 v[32:33], v[44:45], -v[32:33]
	v_add_f64 v[34:35], v[46:47], -v[34:35]
	v_fma_f64 v[6:7], v[22:23], 2.0, -v[58:59]
	v_add_f64 v[26:27], v[2:3], -v[26:27]
	v_fma_f64 v[22:23], v[30:31], 2.0, -v[62:63]
	v_add_f64 v[30:31], v[36:37], -v[40:41]
	s_waitcnt lgkmcnt(0)
	v_add_f64 v[40:41], v[18:19], -v[50:51]
	v_fma_f64 v[64:65], v[4:5], 2.0, -v[52:53]
	v_fma_f64 v[4:5], v[20:21], 2.0, -v[56:57]
	v_fma_f64 v[20:21], v[28:29], 2.0, -v[60:61]
	v_fma_f64 v[28:29], v[44:45], 2.0, -v[32:33]
	v_add_f64 v[14:15], v[10:11], -v[14:15]
	v_add_f64 v[24:25], v[0:1], -v[24:25]
	;; [unrolled: 1-line block ×8, first 2 shown]
	v_add_f64 v[56:57], v[54:55], v[56:57]
	v_add_f64 v[32:33], v[62:63], v[32:33]
	;; [unrolled: 1-line block ×4, first 2 shown]
	v_fma_f64 v[52:53], v[52:53], 2.0, -v[48:49]
	v_fma_f64 v[60:61], v[60:61], 2.0, -v[50:51]
	;; [unrolled: 1-line block ×4, first 2 shown]
	s_mov_b32 s0, 0x667f3bcd
	s_mov_b32 s1, 0xbfe6a09e
	v_fma_f64 v[54:55], v[54:55], 2.0, -v[56:57]
	v_fma_f64 v[62:63], v[62:63], 2.0, -v[32:33]
	v_fma_f64 v[78:79], v[14:15], 2.0, -v[70:71]
	v_fma_f64 v[94:95], v[42:43], 2.0, -v[72:73]
	v_fma_f64 v[96:97], v[60:61], s[0:1], v[52:53]
	v_fma_f64 v[98:99], v[76:77], s[0:1], v[74:75]
	v_fma_f64 v[34:35], v[46:47], 2.0, -v[34:35]
	v_fma_f64 v[12:13], v[8:9], 2.0, -v[12:13]
	;; [unrolled: 1-line block ×3, first 2 shown]
	v_fma_f64 v[14:15], v[62:63], s[0:1], v[54:55]
	v_fma_f64 v[0:1], v[0:1], 2.0, -v[24:25]
	v_fma_f64 v[46:47], v[94:95], s[0:1], v[78:79]
	v_fma_f64 v[62:63], v[62:63], s[0:1], v[96:97]
	;; [unrolled: 1-line block ×3, first 2 shown]
	s_mov_b32 s5, 0x3fe6a09e
	s_mov_b32 s4, s0
	v_fma_f64 v[2:3], v[2:3], 2.0, -v[26:27]
	v_fma_f64 v[60:61], v[60:61], s[4:5], v[14:15]
	v_fma_f64 v[14:15], v[36:37], 2.0, -v[30:31]
	v_fma_f64 v[26:27], v[76:77], s[4:5], v[46:47]
	v_fma_f64 v[46:47], v[52:53], 2.0, -v[62:63]
	v_fma_f64 v[30:31], v[74:75], 2.0, -v[24:25]
	;; [unrolled: 1-line block ×5, first 2 shown]
	s_mov_b32 s6, 0xcf328d46
	s_mov_b32 s7, 0xbfed906b
	v_fma_f64 v[39:40], v[54:55], 2.0, -v[60:61]
	v_fma_f64 v[41:42], v[78:79], 2.0, -v[26:27]
	v_fma_f64 v[43:44], v[30:31], s[6:7], v[46:47]
	v_add_f64 v[52:53], v[64:65], -v[4:5]
	v_add_f64 v[54:55], v[66:67], -v[6:7]
	;; [unrolled: 1-line block ×8, first 2 shown]
	v_fma_f64 v[78:79], v[50:51], s[4:5], v[48:49]
	v_fma_f64 v[94:95], v[68:69], s[4:5], v[58:59]
	;; [unrolled: 1-line block ×4, first 2 shown]
	s_mov_b32 s8, 0xa6aea964
	s_mov_b32 s9, 0xbfd87de2
	v_fma_f64 v[7:8], v[41:42], s[6:7], v[39:40]
	v_fma_f64 v[5:6], v[41:42], s[8:9], v[43:44]
	v_add_f64 v[74:75], v[52:53], -v[34:35]
	v_add_f64 v[76:77], v[54:55], v[28:29]
	v_add_f64 v[41:42], v[0:1], -v[18:19]
	v_add_f64 v[43:44], v[2:3], v[16:17]
	v_fma_f64 v[78:79], v[32:33], s[0:1], v[78:79]
	v_fma_f64 v[32:33], v[72:73], s[0:1], v[94:95]
	;; [unrolled: 1-line block ×4, first 2 shown]
	v_fma_f64 v[100:101], v[52:53], 2.0, -v[74:75]
	v_fma_f64 v[102:103], v[54:55], 2.0, -v[76:77]
	;; [unrolled: 1-line block ×14, first 2 shown]
	s_mov_b32 s15, 0x3fd87de2
	s_mov_b32 s14, s8
	v_fma_f64 v[48:49], v[48:49], 2.0, -v[78:79]
	v_fma_f64 v[58:59], v[58:59], 2.0, -v[32:33]
	v_fma_f64 v[7:8], v[30:31], s[14:15], v[7:8]
	v_fma_f64 v[30:31], v[104:105], s[0:1], v[100:101]
	;; [unrolled: 1-line block ×3, first 2 shown]
	v_add_f64 v[64:65], v[52:53], -v[20:21]
	v_add_f64 v[66:67], v[54:55], -v[22:23]
	;; [unrolled: 1-line block ×4, first 2 shown]
	v_fma_f64 v[68:69], v[106:107], s[0:1], v[102:103]
	v_fma_f64 v[17:18], v[58:59], s[8:9], v[48:49]
	s_mov_b32 s17, 0x3fed906b
	s_mov_b32 s16, s6
	v_fma_f64 v[9:10], v[106:107], s[0:1], v[30:31]
	v_fma_f64 v[15:16], v[58:59], s[16:17], v[28:29]
	v_fma_f64 v[29:30], v[52:53], 2.0, -v[64:65]
	v_fma_f64 v[52:53], v[54:55], 2.0, -v[66:67]
	;; [unrolled: 1-line block ×4, first 2 shown]
	v_fma_f64 v[94:95], v[50:51], s[16:17], v[72:73]
	v_fma_f64 v[21:22], v[24:25], s[14:15], v[62:63]
	;; [unrolled: 1-line block ×8, first 2 shown]
	v_add_f64 v[17:18], v[29:30], -v[0:1]
	v_add_f64 v[19:20], v[52:53], -v[2:3]
	v_fma_f64 v[2:3], v[32:33], s[14:15], v[94:95]
	v_add_f64 v[33:34], v[64:65], -v[37:38]
	v_add_f64 v[35:36], v[66:67], v[35:36]
	v_fma_f64 v[21:22], v[26:27], s[6:7], v[21:22]
	v_fma_f64 v[23:24], v[24:25], s[16:17], v[54:55]
	;; [unrolled: 1-line block ×5, first 2 shown]
	v_fma_f64 v[29:30], v[29:30], 2.0, -v[17:18]
	v_fma_f64 v[31:32], v[52:53], 2.0, -v[19:20]
	;; [unrolled: 1-line block ×12, first 2 shown]
	s_movk_i32 s0, 0xf0
	v_fma_f64 v[57:58], v[74:75], 2.0, -v[25:26]
	v_fma_f64 v[59:60], v[76:77], 2.0, -v[27:28]
	v_mad_u32_u24 v4, v82, s0, v93
	v_fma_f64 v[61:62], v[78:79], 2.0, -v[0:1]
	v_fma_f64 v[63:64], v[72:73], 2.0, -v[2:3]
	s_waitcnt lgkmcnt(0)
	; wave barrier
	ds_write_b128 v4, v[29:32]
	ds_write_b128 v4, v[37:40] offset:16
	ds_write_b128 v4, v[41:44] offset:32
	;; [unrolled: 1-line block ×15, first 2 shown]
	s_waitcnt lgkmcnt(0)
	; wave barrier
	s_waitcnt lgkmcnt(0)
	v_lshl_add_u32 v98, v86, 4, 0
	v_lshl_add_u32 v97, v91, 4, 0
	;; [unrolled: 1-line block ×4, first 2 shown]
	ds_read_b128 v[40:43], v93
	ds_read_b128 v[16:19], v93 offset:4096
	ds_read_b128 v[76:79], v93 offset:8192
	;; [unrolled: 1-line block ×5, first 2 shown]
	ds_read_b128 v[32:35], v97
	ds_read_b128 v[28:31], v96
	ds_read_b128 v[60:63], v93 offset:9728
	ds_read_b128 v[52:55], v93 offset:10496
	ds_read_b128 v[24:27], v95
	ds_read_b128 v[56:59], v93 offset:6400
	ds_read_b128 v[48:51], v93 offset:7168
	ds_read_b128 v[36:39], v98
	ds_read_b128 v[44:47], v93 offset:11264
	v_cmp_gt_u32_e64 s[0:1], 16, v82
	v_lshl_add_u32 v94, v88, 4, 0
                                        ; implicit-def: $vgpr10_vgpr11
                                        ; implicit-def: $vgpr6_vgpr7
	s_and_saveexec_b64 s[4:5], s[0:1]
	s_cbranch_execz .LBB0_15
; %bb.14:
	s_movk_i32 s6, 0xff10
	v_mad_i32_i24 v8, v82, s6, v4
	ds_read_b128 v[0:3], v94
	ds_read_b128 v[4:7], v8 offset:7936
	ds_read_b128 v[8:11], v8 offset:12032
.LBB0_15:
	s_or_b64 exec, exec, s[4:5]
	v_and_b32_e32 v83, 15, v82
	v_lshlrev_b32_e32 v12, 5, v83
	global_load_dwordx2 v[99:100], v12, s[12:13]
	v_lshlrev_b32_e32 v12, 5, v82
	v_and_b32_e32 v87, 0x1e0, v12
	global_load_dwordx4 v[12:15], v87, s[12:13]
	s_mov_b32 s4, 0xe8584caa
	s_mov_b32 s5, 0x3febb67a
	;; [unrolled: 1-line block ×4, first 2 shown]
	s_waitcnt vmcnt(0) lgkmcnt(13)
	v_mul_f64 v[20:21], v[18:19], v[14:15]
	v_fma_f64 v[101:102], v[16:17], v[99:100], -v[20:21]
	v_mul_f64 v[16:17], v[16:17], v[14:15]
	v_fma_f64 v[103:104], v[18:19], v[99:100], v[16:17]
	global_load_dwordx4 v[16:19], v87, s[12:13] offset:8
	global_load_dwordx4 v[20:23], v87, s[12:13] offset:16
	s_waitcnt lgkmcnt(0)
	; wave barrier
	s_waitcnt vmcnt(0) lgkmcnt(0)
	v_mul_f64 v[105:106], v[78:79], v[22:23]
	v_fma_f64 v[105:106], v[76:77], v[18:19], -v[105:106]
	v_mul_f64 v[76:77], v[76:77], v[22:23]
	v_fma_f64 v[76:77], v[78:79], v[18:19], v[76:77]
	v_mul_f64 v[78:79], v[74:75], v[14:15]
	v_fma_f64 v[78:79], v[72:73], v[99:100], -v[78:79]
	v_mul_f64 v[72:73], v[72:73], v[14:15]
	v_fma_f64 v[72:73], v[74:75], v[99:100], v[72:73]
	;; [unrolled: 4-line block ×5, first 2 shown]
	v_mul_f64 v[60:61], v[58:59], v[14:15]
	v_add_f64 v[62:63], v[66:67], -v[109:110]
	v_fma_f64 v[111:112], v[56:57], v[99:100], -v[60:61]
	v_mul_f64 v[56:57], v[56:57], v[14:15]
	v_fma_f64 v[113:114], v[58:59], v[99:100], v[56:57]
	v_mul_f64 v[56:57], v[54:55], v[22:23]
	v_add_f64 v[58:59], v[78:79], -v[74:75]
	v_fma_f64 v[115:116], v[52:53], v[18:19], -v[56:57]
	v_mul_f64 v[52:53], v[52:53], v[22:23]
	v_fma_f64 v[117:118], v[54:55], v[18:19], v[52:53]
	v_mul_f64 v[52:53], v[50:51], v[14:15]
	v_mul_f64 v[14:15], v[48:49], v[14:15]
	v_add_f64 v[54:55], v[72:73], -v[68:69]
	v_fma_f64 v[119:120], v[48:49], v[99:100], -v[52:53]
	v_mul_f64 v[48:49], v[46:47], v[22:23]
	v_mul_f64 v[22:23], v[44:45], v[22:23]
	v_fma_f64 v[14:15], v[50:51], v[99:100], v[14:15]
	v_add_f64 v[50:51], v[101:102], -v[105:106]
	v_fma_f64 v[121:122], v[44:45], v[18:19], -v[48:49]
	v_fma_f64 v[18:19], v[46:47], v[18:19], v[22:23]
	v_add_f64 v[22:23], v[40:41], v[101:102]
	v_add_f64 v[46:47], v[103:104], -v[76:77]
	v_add_f64 v[44:45], v[22:23], v[105:106]
	v_add_f64 v[22:23], v[101:102], v[105:106]
	v_fma_f64 v[22:23], v[22:23], -0.5, v[40:41]
	v_fma_f64 v[40:41], v[46:47], s[4:5], v[22:23]
	v_fma_f64 v[48:49], v[46:47], s[6:7], v[22:23]
	v_add_f64 v[22:23], v[42:43], v[103:104]
	v_add_f64 v[46:47], v[22:23], v[76:77]
	;; [unrolled: 1-line block ×4, first 2 shown]
	v_fma_f64 v[22:23], v[22:23], -0.5, v[42:43]
	v_fma_f64 v[42:43], v[50:51], s[6:7], v[22:23]
	v_fma_f64 v[50:51], v[50:51], s[4:5], v[22:23]
	v_add_f64 v[22:23], v[36:37], v[78:79]
	v_add_f64 v[52:53], v[22:23], v[74:75]
	;; [unrolled: 1-line block ×3, first 2 shown]
	v_add_f64 v[74:75], v[111:112], -v[115:116]
	v_add_f64 v[78:79], v[14:15], -v[18:19]
	v_fma_f64 v[22:23], v[22:23], -0.5, v[36:37]
	v_fma_f64 v[36:37], v[54:55], s[4:5], v[22:23]
	v_fma_f64 v[56:57], v[54:55], s[6:7], v[22:23]
	v_add_f64 v[22:23], v[38:39], v[72:73]
	v_add_f64 v[54:55], v[22:23], v[68:69]
	v_add_f64 v[22:23], v[72:73], v[68:69]
	v_fma_f64 v[22:23], v[22:23], -0.5, v[38:39]
	v_fma_f64 v[38:39], v[58:59], s[6:7], v[22:23]
	v_fma_f64 v[58:59], v[58:59], s[4:5], v[22:23]
	v_add_f64 v[22:23], v[32:33], v[70:71]
	v_add_f64 v[60:61], v[22:23], v[107:108]
	v_add_f64 v[22:23], v[70:71], v[107:108]
	;; [unrolled: 6-line block ×3, first 2 shown]
	v_add_f64 v[66:67], v[70:71], -v[107:108]
	v_add_f64 v[70:71], v[113:114], -v[117:118]
	v_fma_f64 v[22:23], v[22:23], -0.5, v[34:35]
	v_fma_f64 v[34:35], v[66:67], s[6:7], v[22:23]
	v_fma_f64 v[66:67], v[66:67], s[4:5], v[22:23]
	v_add_f64 v[22:23], v[28:29], v[111:112]
	v_add_f64 v[68:69], v[22:23], v[115:116]
	;; [unrolled: 1-line block ×3, first 2 shown]
	v_fma_f64 v[22:23], v[22:23], -0.5, v[28:29]
	v_fma_f64 v[28:29], v[70:71], s[4:5], v[22:23]
	v_fma_f64 v[72:73], v[70:71], s[6:7], v[22:23]
	v_add_f64 v[22:23], v[30:31], v[113:114]
	v_add_f64 v[70:71], v[22:23], v[117:118]
	;; [unrolled: 1-line block ×3, first 2 shown]
	v_fma_f64 v[22:23], v[22:23], -0.5, v[30:31]
	v_fma_f64 v[30:31], v[74:75], s[6:7], v[22:23]
	v_fma_f64 v[74:75], v[74:75], s[4:5], v[22:23]
	v_add_f64 v[22:23], v[24:25], v[119:120]
	v_fma_f64 v[24:25], v[76:77], -0.5, v[24:25]
	v_add_f64 v[22:23], v[22:23], v[121:122]
	v_fma_f64 v[76:77], v[78:79], s[4:5], v[24:25]
	v_fma_f64 v[99:100], v[78:79], s[6:7], v[24:25]
	v_add_f64 v[24:25], v[26:27], v[14:15]
	v_add_f64 v[14:15], v[14:15], v[18:19]
	v_add_f64 v[24:25], v[24:25], v[18:19]
	v_fma_f64 v[14:15], v[14:15], -0.5, v[26:27]
	v_add_f64 v[18:19], v[119:120], -v[121:122]
	v_fma_f64 v[78:79], v[18:19], s[6:7], v[14:15]
	v_fma_f64 v[101:102], v[18:19], s[4:5], v[14:15]
	v_lshrrev_b32_e32 v14, 4, v82
	v_mul_u32_u24_e32 v14, 48, v14
	v_or_b32_e32 v14, v14, v83
	v_lshl_add_u32 v14, v14, 4, 0
	ds_write_b128 v14, v[44:47]
	ds_write_b128 v14, v[40:43] offset:256
	ds_write_b128 v14, v[48:51] offset:512
	v_lshrrev_b32_e32 v14, 4, v86
	v_mul_lo_u32 v14, v14, 48
	v_or_b32_e32 v14, v14, v83
	v_lshl_add_u32 v14, v14, 4, 0
	ds_write_b128 v14, v[52:55]
	ds_write_b128 v14, v[36:39] offset:256
	ds_write_b128 v14, v[56:59] offset:512
	v_lshrrev_b32_e32 v14, 4, v91
	v_mul_lo_u32 v14, v14, 48
	;; [unrolled: 7-line block ×4, first 2 shown]
	v_or_b32_e32 v14, v14, v83
	v_lshl_add_u32 v14, v14, 4, 0
	ds_write_b128 v14, v[22:25]
	ds_write_b128 v14, v[76:79] offset:256
	ds_write_b128 v14, v[99:102] offset:512
	s_and_saveexec_b64 s[8:9], s[0:1]
	s_cbranch_execz .LBB0_17
; %bb.16:
	v_mov_b32_e32 v14, s13
	v_add_co_u32_e64 v15, s[0:1], s12, v87
	v_addc_co_u32_e64 v18, s[0:1], 0, v14, s[0:1]
	v_add_co_u32_e64 v14, s[0:1], 16, v15
	v_addc_co_u32_e64 v15, s[0:1], 0, v18, s[0:1]
	global_load_dwordx2 v[14:15], v[14:15], off offset:8
	v_mul_f64 v[18:19], v[4:5], v[16:17]
	v_mul_f64 v[16:17], v[6:7], v[16:17]
	v_fma_f64 v[6:7], v[6:7], v[12:13], v[18:19]
	v_fma_f64 v[4:5], v[4:5], v[12:13], -v[16:17]
	v_add_f64 v[16:17], v[2:3], v[6:7]
	v_add_f64 v[18:19], v[0:1], v[4:5]
	s_waitcnt vmcnt(0)
	v_mul_f64 v[22:23], v[8:9], v[14:15]
	v_mul_f64 v[14:15], v[10:11], v[14:15]
	v_fma_f64 v[10:11], v[10:11], v[20:21], v[22:23]
	v_fma_f64 v[8:9], v[8:9], v[20:21], -v[14:15]
	v_add_f64 v[12:13], v[6:7], v[10:11]
	v_add_f64 v[14:15], v[4:5], v[8:9]
	v_add_f64 v[4:5], v[4:5], -v[8:9]
	v_add_f64 v[20:21], v[6:7], -v[10:11]
	v_fma_f64 v[12:13], v[12:13], -0.5, v[2:3]
	v_fma_f64 v[14:15], v[14:15], -0.5, v[0:1]
	v_add_f64 v[2:3], v[16:17], v[10:11]
	v_add_f64 v[0:1], v[18:19], v[8:9]
	v_fma_f64 v[10:11], v[4:5], s[6:7], v[12:13]
	v_fma_f64 v[8:9], v[20:21], s[4:5], v[14:15]
	;; [unrolled: 1-line block ×4, first 2 shown]
	ds_write_b128 v93, v[0:3] offset:11520
	ds_write_b128 v93, v[8:11] offset:11776
	;; [unrolled: 1-line block ×3, first 2 shown]
.LBB0_17:
	s_or_b64 exec, exec, s[8:9]
	v_mul_u32_u24_e32 v64, 15, v82
	v_lshlrev_b32_e32 v83, 4, v64
	s_waitcnt lgkmcnt(0)
	; wave barrier
	s_waitcnt lgkmcnt(0)
	ds_read_b128 v[0:3], v93
	ds_read_b128 v[16:19], v98
	;; [unrolled: 1-line block ×6, first 2 shown]
	ds_read_b128 v[36:39], v93 offset:4608
	ds_read_b128 v[40:43], v93 offset:5376
	ds_read_b128 v[44:47], v93 offset:6144
	ds_read_b128 v[48:51], v93 offset:6912
	ds_read_b128 v[52:55], v93 offset:7680
	ds_read_b128 v[56:59], v93 offset:8448
	ds_read_b128 v[60:63], v93 offset:9216
	ds_read_b128 v[12:15], v93 offset:9984
	ds_read_b128 v[8:11], v93 offset:10752
	ds_read_b128 v[4:7], v93 offset:11520
	global_load_dwordx4 v[64:67], v83, s[12:13] offset:560
	global_load_dwordx4 v[68:71], v83, s[12:13] offset:544
	;; [unrolled: 1-line block ×4, first 2 shown]
	s_mov_b32 s0, 0x667f3bcd
	s_mov_b32 s1, 0xbfe6a09e
	;; [unrolled: 1-line block ×11, first 2 shown]
	s_waitcnt vmcnt(0) lgkmcnt(14)
	v_mul_f64 v[99:100], v[18:19], v[78:79]
	v_fma_f64 v[99:100], v[16:17], v[76:77], -v[99:100]
	v_mul_f64 v[16:17], v[16:17], v[78:79]
	v_fma_f64 v[76:77], v[18:19], v[76:77], v[16:17]
	s_waitcnt lgkmcnt(13)
	v_mul_f64 v[16:17], v[22:23], v[74:75]
	s_waitcnt lgkmcnt(12)
	v_mul_f64 v[18:19], v[24:25], v[70:71]
	v_fma_f64 v[78:79], v[20:21], v[72:73], -v[16:17]
	v_mul_f64 v[16:17], v[20:21], v[74:75]
	v_fma_f64 v[72:73], v[22:23], v[72:73], v[16:17]
	v_mul_f64 v[16:17], v[26:27], v[70:71]
	v_fma_f64 v[16:17], v[24:25], v[68:69], -v[16:17]
	v_fma_f64 v[68:69], v[26:27], v[68:69], v[18:19]
	s_waitcnt lgkmcnt(11)
	v_mul_f64 v[18:19], v[30:31], v[66:67]
	v_fma_f64 v[70:71], v[28:29], v[64:65], -v[18:19]
	v_mul_f64 v[18:19], v[28:29], v[66:67]
	v_fma_f64 v[74:75], v[30:31], v[64:65], v[18:19]
	global_load_dwordx4 v[18:21], v83, s[12:13] offset:624
	global_load_dwordx4 v[22:25], v83, s[12:13] offset:608
	;; [unrolled: 1-line block ×4, first 2 shown]
	s_waitcnt vmcnt(0) lgkmcnt(10)
	v_mul_f64 v[30:31], v[34:35], v[66:67]
	v_fma_f64 v[101:102], v[32:33], v[64:65], -v[30:31]
	v_mul_f64 v[30:31], v[32:33], v[66:67]
	v_fma_f64 v[34:35], v[34:35], v[64:65], v[30:31]
	s_waitcnt lgkmcnt(9)
	v_mul_f64 v[30:31], v[38:39], v[28:29]
	v_mul_f64 v[28:29], v[36:37], v[28:29]
	v_fma_f64 v[64:65], v[36:37], v[26:27], -v[30:31]
	v_fma_f64 v[36:37], v[38:39], v[26:27], v[28:29]
	s_waitcnt lgkmcnt(8)
	v_mul_f64 v[26:27], v[42:43], v[24:25]
	v_mul_f64 v[24:25], v[40:41], v[24:25]
	v_fma_f64 v[38:39], v[40:41], v[22:23], -v[26:27]
	;; [unrolled: 5-line block ×3, first 2 shown]
	v_fma_f64 v[44:45], v[46:47], v[18:19], v[20:21]
	global_load_dwordx4 v[18:21], v83, s[12:13] offset:688
	global_load_dwordx4 v[22:25], v83, s[12:13] offset:672
	;; [unrolled: 1-line block ×4, first 2 shown]
	s_waitcnt vmcnt(0) lgkmcnt(6)
	v_mul_f64 v[46:47], v[50:51], v[32:33]
	v_mul_f64 v[32:33], v[48:49], v[32:33]
	v_fma_f64 v[46:47], v[48:49], v[30:31], -v[46:47]
	v_fma_f64 v[30:31], v[50:51], v[30:31], v[32:33]
	s_waitcnt lgkmcnt(5)
	v_mul_f64 v[32:33], v[54:55], v[28:29]
	v_mul_f64 v[28:29], v[52:53], v[28:29]
	v_add_f64 v[46:47], v[99:100], -v[46:47]
	v_add_f64 v[30:31], v[76:77], -v[30:31]
	v_fma_f64 v[32:33], v[52:53], v[26:27], -v[32:33]
	v_fma_f64 v[48:49], v[54:55], v[26:27], v[28:29]
	s_waitcnt lgkmcnt(4)
	v_mul_f64 v[26:27], v[58:59], v[24:25]
	v_mul_f64 v[24:25], v[56:57], v[24:25]
	v_fma_f64 v[50:51], v[56:57], v[22:23], -v[26:27]
	v_fma_f64 v[52:53], v[58:59], v[22:23], v[24:25]
	s_waitcnt lgkmcnt(3)
	v_mul_f64 v[22:23], v[62:63], v[20:21]
	v_mul_f64 v[20:21], v[60:61], v[20:21]
	v_add_f64 v[50:51], v[16:17], -v[50:51]
	v_add_f64 v[52:53], v[68:69], -v[52:53]
	v_fma_f64 v[54:55], v[60:61], v[18:19], -v[22:23]
	v_fma_f64 v[56:57], v[62:63], v[18:19], v[20:21]
	global_load_dwordx4 v[18:21], v83, s[12:13] offset:736
	global_load_dwordx4 v[22:25], v83, s[12:13] offset:720
	;; [unrolled: 1-line block ×3, first 2 shown]
	s_waitcnt lgkmcnt(0)
	; wave barrier
	s_waitcnt lgkmcnt(0)
	v_fma_f64 v[16:17], v[16:17], 2.0, -v[50:51]
	v_fma_f64 v[62:63], v[68:69], 2.0, -v[52:53]
	s_waitcnt vmcnt(0)
	v_mul_f64 v[58:59], v[14:15], v[28:29]
	v_fma_f64 v[58:59], v[12:13], v[26:27], -v[58:59]
	v_mul_f64 v[12:13], v[12:13], v[28:29]
	v_add_f64 v[28:29], v[78:79], -v[32:33]
	v_add_f64 v[32:33], v[72:73], -v[48:49]
	;; [unrolled: 1-line block ×3, first 2 shown]
	v_fma_f64 v[12:13], v[14:15], v[26:27], v[12:13]
	v_mul_f64 v[14:15], v[10:11], v[24:25]
	v_fma_f64 v[60:61], v[101:102], 2.0, -v[58:59]
	v_add_f64 v[12:13], v[34:35], -v[12:13]
	v_fma_f64 v[14:15], v[8:9], v[22:23], -v[14:15]
	v_mul_f64 v[8:9], v[8:9], v[24:25]
	v_add_f64 v[58:59], v[30:31], v[58:59]
	v_fma_f64 v[34:35], v[34:35], 2.0, -v[12:13]
	v_add_f64 v[14:15], v[64:65], -v[14:15]
	v_fma_f64 v[8:9], v[10:11], v[22:23], v[8:9]
	v_mul_f64 v[10:11], v[6:7], v[20:21]
	v_add_f64 v[22:23], v[74:75], -v[56:57]
	v_add_f64 v[12:13], v[46:47], -v[12:13]
	v_fma_f64 v[56:57], v[76:77], 2.0, -v[30:31]
	v_fma_f64 v[30:31], v[30:31], 2.0, -v[58:59]
	;; [unrolled: 1-line block ×3, first 2 shown]
	v_add_f64 v[8:9], v[36:37], -v[8:9]
	v_fma_f64 v[10:11], v[4:5], v[18:19], -v[10:11]
	v_mul_f64 v[4:5], v[4:5], v[20:21]
	v_add_f64 v[20:21], v[70:71], -v[54:55]
	v_fma_f64 v[26:27], v[74:75], 2.0, -v[22:23]
	v_add_f64 v[14:15], v[32:33], v[14:15]
	v_fma_f64 v[54:55], v[99:100], 2.0, -v[46:47]
	v_fma_f64 v[46:47], v[46:47], 2.0, -v[12:13]
	;; [unrolled: 1-line block ×3, first 2 shown]
	v_add_f64 v[10:11], v[38:39], -v[10:11]
	v_fma_f64 v[4:5], v[6:7], v[18:19], v[4:5]
	v_add_f64 v[6:7], v[0:1], -v[42:43]
	v_add_f64 v[18:19], v[2:3], -v[44:45]
	v_fma_f64 v[24:25], v[70:71], 2.0, -v[20:21]
	v_fma_f64 v[42:43], v[78:79], 2.0, -v[28:29]
	;; [unrolled: 1-line block ×3, first 2 shown]
	v_add_f64 v[8:9], v[28:29], -v[8:9]
	v_fma_f64 v[38:39], v[38:39], 2.0, -v[10:11]
	v_add_f64 v[4:5], v[40:41], -v[4:5]
	v_fma_f64 v[0:1], v[0:1], 2.0, -v[6:7]
	v_fma_f64 v[2:3], v[2:3], 2.0, -v[18:19]
	v_add_f64 v[22:23], v[6:7], -v[22:23]
	v_add_f64 v[48:49], v[42:43], -v[48:49]
	;; [unrolled: 1-line block ×3, first 2 shown]
	v_add_f64 v[20:21], v[18:19], v[20:21]
	v_fma_f64 v[28:29], v[28:29], 2.0, -v[8:9]
	v_fma_f64 v[32:33], v[32:33], 2.0, -v[14:15]
	v_add_f64 v[24:25], v[0:1], -v[24:25]
	v_add_f64 v[26:27], v[2:3], -v[26:27]
	v_fma_f64 v[6:7], v[6:7], 2.0, -v[22:23]
	v_fma_f64 v[42:43], v[42:43], 2.0, -v[48:49]
	;; [unrolled: 1-line block ×5, first 2 shown]
	v_add_f64 v[60:61], v[54:55], -v[60:61]
	v_fma_f64 v[0:1], v[0:1], 2.0, -v[24:25]
	v_fma_f64 v[2:3], v[2:3], 2.0, -v[26:27]
	v_add_f64 v[38:39], v[16:17], -v[38:39]
	v_add_f64 v[4:5], v[50:51], -v[4:5]
	v_add_f64 v[10:11], v[52:53], v[10:11]
	v_add_f64 v[74:75], v[26:27], v[48:49]
	v_add_f64 v[40:41], v[62:63], -v[40:41]
	v_fma_f64 v[54:55], v[54:55], 2.0, -v[60:61]
	v_add_f64 v[42:43], v[0:1], -v[42:43]
	v_add_f64 v[44:45], v[2:3], -v[44:45]
	v_fma_f64 v[16:17], v[16:17], 2.0, -v[38:39]
	v_fma_f64 v[50:51], v[50:51], 2.0, -v[4:5]
	;; [unrolled: 1-line block ×3, first 2 shown]
	v_add_f64 v[34:35], v[56:57], -v[34:35]
	v_fma_f64 v[62:63], v[62:63], 2.0, -v[40:41]
	v_add_f64 v[72:73], v[24:25], -v[36:37]
	v_fma_f64 v[64:65], v[0:1], 2.0, -v[42:43]
	v_fma_f64 v[66:67], v[2:3], 2.0, -v[44:45]
	v_fma_f64 v[0:1], v[28:29], s[0:1], v[6:7]
	v_fma_f64 v[2:3], v[32:33], s[0:1], v[18:19]
	v_add_f64 v[48:49], v[54:55], -v[16:17]
	v_fma_f64 v[56:57], v[56:57], 2.0, -v[34:35]
	v_fma_f64 v[26:27], v[26:27], 2.0, -v[74:75]
	v_fma_f64 v[24:25], v[24:25], 2.0, -v[72:73]
	v_fma_f64 v[68:69], v[32:33], s[0:1], v[0:1]
	v_fma_f64 v[70:71], v[28:29], s[4:5], v[2:3]
	;; [unrolled: 1-line block ×4, first 2 shown]
	v_add_f64 v[62:63], v[56:57], -v[62:63]
	v_fma_f64 v[28:29], v[6:7], 2.0, -v[68:69]
	v_fma_f64 v[6:7], v[50:51], s[0:1], v[46:47]
	v_fma_f64 v[78:79], v[8:9], s[4:5], v[2:3]
	;; [unrolled: 1-line block ×4, first 2 shown]
	v_fma_f64 v[0:1], v[54:55], 2.0, -v[48:49]
	v_add_f64 v[54:55], v[60:61], -v[40:41]
	v_fma_f64 v[18:19], v[18:19], 2.0, -v[70:71]
	v_fma_f64 v[2:3], v[56:57], 2.0, -v[62:63]
	v_fma_f64 v[52:53], v[52:53], s[0:1], v[6:7]
	v_fma_f64 v[6:7], v[4:5], s[4:5], v[12:13]
	;; [unrolled: 1-line block ×3, first 2 shown]
	v_fma_f64 v[36:37], v[20:21], 2.0, -v[78:79]
	v_fma_f64 v[32:33], v[22:23], 2.0, -v[76:77]
	;; [unrolled: 1-line block ×3, first 2 shown]
	v_fma_f64 v[22:23], v[10:11], s[4:5], v[58:59]
	v_add_f64 v[56:57], v[34:35], v[38:39]
	v_fma_f64 v[14:15], v[46:47], 2.0, -v[52:53]
	v_fma_f64 v[60:61], v[10:11], s[0:1], v[6:7]
	v_fma_f64 v[8:9], v[30:31], 2.0, -v[50:51]
	v_fma_f64 v[40:41], v[52:53], s[6:7], v[68:69]
	v_add_f64 v[0:1], v[64:65], -v[0:1]
	v_add_f64 v[2:3], v[66:67], -v[2:3]
	v_fma_f64 v[99:100], v[4:5], s[4:5], v[22:23]
	v_fma_f64 v[16:17], v[34:35], 2.0, -v[56:57]
	v_fma_f64 v[10:11], v[14:15], s[14:15], v[28:29]
	v_fma_f64 v[30:31], v[12:13], 2.0, -v[60:61]
	v_fma_f64 v[12:13], v[8:9], s[14:15], v[18:19]
	v_fma_f64 v[40:41], v[50:51], s[14:15], v[40:41]
	v_fma_f64 v[4:5], v[64:65], 2.0, -v[0:1]
	v_fma_f64 v[6:7], v[66:67], 2.0, -v[2:3]
	v_fma_f64 v[34:35], v[58:59], 2.0, -v[99:100]
	v_fma_f64 v[22:23], v[16:17], s[0:1], v[26:27]
	v_fma_f64 v[8:9], v[8:9], s[8:9], v[10:11]
	;; [unrolled: 1-line block ×4, first 2 shown]
	v_fma_f64 v[12:13], v[28:29], 2.0, -v[8:9]
	v_fma_f64 v[58:59], v[60:61], s[6:7], v[58:59]
	v_fma_f64 v[14:15], v[18:19], 2.0, -v[10:11]
	v_fma_f64 v[18:19], v[20:21], s[0:1], v[24:25]
	v_fma_f64 v[16:17], v[16:17], s[0:1], v[18:19]
	;; [unrolled: 1-line block ×3, first 2 shown]
	v_fma_f64 v[20:21], v[24:25], 2.0, -v[16:17]
	v_fma_f64 v[24:25], v[30:31], s[8:9], v[32:33]
	v_fma_f64 v[22:23], v[26:27], 2.0, -v[18:19]
	v_fma_f64 v[26:27], v[34:35], s[8:9], v[36:37]
	v_fma_f64 v[24:25], v[34:35], s[14:15], v[24:25]
	v_add_f64 v[34:35], v[44:45], v[48:49]
	v_fma_f64 v[26:27], v[30:31], s[16:17], v[26:27]
	v_fma_f64 v[48:49], v[54:55], s[4:5], v[72:73]
	v_fma_f64 v[28:29], v[32:33], 2.0, -v[24:25]
	v_add_f64 v[32:33], v[42:43], -v[62:63]
	v_fma_f64 v[30:31], v[36:37], 2.0, -v[26:27]
	v_fma_f64 v[48:49], v[56:57], s[0:1], v[48:49]
	v_fma_f64 v[38:39], v[44:45], 2.0, -v[34:35]
	v_fma_f64 v[44:45], v[68:69], 2.0, -v[40:41]
	;; [unrolled: 1-line block ×3, first 2 shown]
	v_cmp_ne_u32_e64 s[0:1], 0, v82
	v_fma_f64 v[36:37], v[42:43], 2.0, -v[32:33]
	v_fma_f64 v[42:43], v[50:51], s[6:7], v[70:71]
	v_fma_f64 v[50:51], v[56:57], s[4:5], v[74:75]
	;; [unrolled: 1-line block ×3, first 2 shown]
	s_add_u32 s6, s12, 0x2f00
	s_addc_u32 s7, s13, 0
	v_fma_f64 v[42:43], v[52:53], s[16:17], v[42:43]
	v_fma_f64 v[50:51], v[54:55], s[4:5], v[50:51]
	;; [unrolled: 1-line block ×3, first 2 shown]
	v_fma_f64 v[52:53], v[72:73], 2.0, -v[48:49]
	v_fma_f64 v[46:47], v[70:71], 2.0, -v[42:43]
	;; [unrolled: 1-line block ×4, first 2 shown]
	ds_write_b128 v93, v[4:7]
	ds_write_b128 v93, v[12:15] offset:768
	ds_write_b128 v93, v[20:23] offset:1536
	ds_write_b128 v93, v[28:31] offset:2304
	ds_write_b128 v95, v[36:39]
	ds_write_b128 v93, v[44:47] offset:3840
	ds_write_b128 v93, v[52:55] offset:4608
	;; [unrolled: 1-line block ×11, first 2 shown]
	s_waitcnt lgkmcnt(0)
	; wave barrier
	s_waitcnt lgkmcnt(0)
	ds_read_b128 v[4:7], v93
	v_lshlrev_b32_e32 v0, 4, v82
	v_sub_u32_e32 v12, 0, v0
                                        ; implicit-def: $vgpr0_vgpr1
                                        ; implicit-def: $vgpr8_vgpr9
                                        ; implicit-def: $vgpr10_vgpr11
	s_and_saveexec_b64 s[4:5], s[0:1]
	s_xor_b64 s[4:5], exec, s[4:5]
	s_cbranch_execz .LBB0_19
; %bb.18:
	v_mov_b32_e32 v83, 0
	v_lshlrev_b64 v[0:1], 4, v[82:83]
	v_mov_b32_e32 v2, s7
	v_add_co_u32_e64 v0, s[0:1], s6, v0
	v_addc_co_u32_e64 v1, s[0:1], v2, v1, s[0:1]
	global_load_dwordx4 v[13:16], v[0:1], off
	ds_read_b128 v[0:3], v12 offset:12288
	s_waitcnt lgkmcnt(0)
	v_add_f64 v[8:9], v[4:5], -v[0:1]
	v_add_f64 v[10:11], v[6:7], v[2:3]
	v_add_f64 v[2:3], v[6:7], -v[2:3]
	v_add_f64 v[0:1], v[4:5], v[0:1]
	v_mul_f64 v[6:7], v[8:9], 0.5
	v_mul_f64 v[4:5], v[10:11], 0.5
	;; [unrolled: 1-line block ×3, first 2 shown]
	s_waitcnt vmcnt(0)
	v_mul_f64 v[8:9], v[6:7], v[15:16]
	v_fma_f64 v[10:11], v[4:5], v[15:16], v[2:3]
	v_fma_f64 v[2:3], v[4:5], v[15:16], -v[2:3]
	v_fma_f64 v[17:18], v[0:1], 0.5, v[8:9]
	v_fma_f64 v[0:1], v[0:1], 0.5, -v[8:9]
	v_fma_f64 v[10:11], -v[13:14], v[6:7], v[10:11]
	v_fma_f64 v[2:3], -v[13:14], v[6:7], v[2:3]
	v_fma_f64 v[8:9], v[4:5], v[13:14], v[17:18]
	v_fma_f64 v[0:1], -v[4:5], v[13:14], v[0:1]
                                        ; implicit-def: $vgpr4_vgpr5
.LBB0_19:
	s_andn2_saveexec_b64 s[0:1], s[4:5]
	s_cbranch_execz .LBB0_21
; %bb.20:
	s_waitcnt lgkmcnt(0)
	v_add_f64 v[8:9], v[4:5], v[6:7]
	v_add_f64 v[0:1], v[4:5], -v[6:7]
	v_mov_b32_e32 v4, 0
	ds_read_b64 v[2:3], v4 offset:6152
	v_mov_b32_e32 v10, 0
	v_mov_b32_e32 v11, 0
	s_waitcnt lgkmcnt(0)
	v_xor_b32_e32 v3, 0x80000000, v3
	ds_write_b64 v4, v[2:3] offset:6152
	v_mov_b32_e32 v2, v10
	v_mov_b32_e32 v3, v11
.LBB0_21:
	s_or_b64 exec, exec, s[0:1]
	v_mov_b32_e32 v87, 0
	s_waitcnt lgkmcnt(0)
	v_lshlrev_b64 v[4:5], 4, v[86:87]
	v_mov_b32_e32 v6, s7
	v_add_co_u32_e64 v4, s[0:1], s6, v4
	v_addc_co_u32_e64 v5, s[0:1], v6, v5, s[0:1]
	global_load_dwordx4 v[4:7], v[4:5], off
	v_mov_b32_e32 v92, v87
	v_lshlrev_b64 v[13:14], 4, v[91:92]
	v_mov_b32_e32 v15, s7
	v_add_co_u32_e64 v13, s[0:1], s6, v13
	v_addc_co_u32_e64 v14, s[0:1], v15, v14, s[0:1]
	global_load_dwordx4 v[13:16], v[13:14], off
	ds_write2_b64 v93, v[8:9], v[10:11] offset1:1
	ds_write_b128 v12, v[0:3] offset:12288
	ds_read_b128 v[0:3], v98
	ds_read_b128 v[8:11], v12 offset:11520
	v_mov_b32_e32 v91, v87
	v_mov_b32_e32 v25, s7
	v_add_u32_e32 v86, 0x120, v82
	s_waitcnt lgkmcnt(0)
	v_add_f64 v[17:18], v[0:1], -v[8:9]
	v_add_f64 v[19:20], v[2:3], v[10:11]
	v_add_f64 v[2:3], v[2:3], -v[10:11]
	v_add_f64 v[0:1], v[0:1], v[8:9]
	v_mul_f64 v[10:11], v[17:18], 0.5
	v_mul_f64 v[17:18], v[19:20], 0.5
	;; [unrolled: 1-line block ×3, first 2 shown]
	v_lshlrev_b64 v[19:20], 4, v[90:91]
	v_mov_b32_e32 v90, v87
	s_waitcnt vmcnt(1)
	v_mul_f64 v[8:9], v[10:11], v[6:7]
	v_fma_f64 v[21:22], v[17:18], v[6:7], v[2:3]
	v_fma_f64 v[6:7], v[17:18], v[6:7], -v[2:3]
	v_fma_f64 v[23:24], v[0:1], 0.5, v[8:9]
	v_fma_f64 v[8:9], v[0:1], 0.5, -v[8:9]
	v_add_co_u32_e64 v0, s[0:1], s6, v19
	v_addc_co_u32_e64 v1, s[0:1], v25, v20, s[0:1]
	global_load_dwordx4 v[0:3], v[0:1], off
	v_fma_f64 v[19:20], -v[4:5], v[10:11], v[21:22]
	v_fma_f64 v[6:7], -v[4:5], v[10:11], v[6:7]
	v_fma_f64 v[10:11], v[17:18], v[4:5], v[23:24]
	v_fma_f64 v[4:5], -v[17:18], v[4:5], v[8:9]
	ds_write2_b64 v98, v[10:11], v[19:20] offset1:1
	ds_write_b128 v12, v[4:7] offset:11520
	ds_read_b128 v[4:7], v97
	ds_read_b128 v[8:11], v12 offset:10752
	s_waitcnt lgkmcnt(0)
	v_add_f64 v[17:18], v[4:5], -v[8:9]
	v_add_f64 v[19:20], v[6:7], v[10:11]
	v_add_f64 v[6:7], v[6:7], -v[10:11]
	v_add_f64 v[4:5], v[4:5], v[8:9]
	v_mul_f64 v[10:11], v[17:18], 0.5
	v_mul_f64 v[17:18], v[19:20], 0.5
	;; [unrolled: 1-line block ×3, first 2 shown]
	v_lshlrev_b64 v[19:20], 4, v[89:90]
	v_mov_b32_e32 v89, v87
	s_waitcnt vmcnt(1)
	v_mul_f64 v[8:9], v[10:11], v[15:16]
	v_fma_f64 v[21:22], v[17:18], v[15:16], v[6:7]
	v_fma_f64 v[15:16], v[17:18], v[15:16], -v[6:7]
	v_fma_f64 v[23:24], v[4:5], 0.5, v[8:9]
	v_fma_f64 v[8:9], v[4:5], 0.5, -v[8:9]
	v_add_co_u32_e64 v4, s[0:1], s6, v19
	v_addc_co_u32_e64 v5, s[0:1], v25, v20, s[0:1]
	global_load_dwordx4 v[4:7], v[4:5], off
	v_fma_f64 v[19:20], -v[13:14], v[10:11], v[21:22]
	v_fma_f64 v[10:11], -v[13:14], v[10:11], v[15:16]
	v_fma_f64 v[15:16], v[17:18], v[13:14], v[23:24]
	v_fma_f64 v[8:9], -v[17:18], v[13:14], v[8:9]
	ds_write2_b64 v97, v[15:16], v[19:20] offset1:1
	ds_write_b128 v12, v[8:11] offset:10752
	ds_read_b128 v[8:11], v96
	ds_read_b128 v[13:16], v12 offset:9984
	s_waitcnt lgkmcnt(0)
	v_add_f64 v[17:18], v[8:9], -v[13:14]
	v_add_f64 v[19:20], v[10:11], v[15:16]
	v_add_f64 v[10:11], v[10:11], -v[15:16]
	v_add_f64 v[8:9], v[8:9], v[13:14]
	v_mul_f64 v[15:16], v[17:18], 0.5
	v_mul_f64 v[17:18], v[19:20], 0.5
	;; [unrolled: 1-line block ×3, first 2 shown]
	v_lshlrev_b64 v[19:20], 4, v[88:89]
	s_waitcnt vmcnt(1)
	v_mul_f64 v[13:14], v[15:16], v[2:3]
	v_fma_f64 v[21:22], v[17:18], v[2:3], v[10:11]
	v_fma_f64 v[2:3], v[17:18], v[2:3], -v[10:11]
	v_fma_f64 v[23:24], v[8:9], 0.5, v[13:14]
	v_fma_f64 v[13:14], v[8:9], 0.5, -v[13:14]
	v_add_co_u32_e64 v8, s[0:1], s6, v19
	v_addc_co_u32_e64 v9, s[0:1], v25, v20, s[0:1]
	global_load_dwordx4 v[8:11], v[8:9], off
	v_fma_f64 v[19:20], -v[0:1], v[15:16], v[21:22]
	v_fma_f64 v[2:3], -v[0:1], v[15:16], v[2:3]
	v_fma_f64 v[15:16], v[17:18], v[0:1], v[23:24]
	v_fma_f64 v[0:1], -v[17:18], v[0:1], v[13:14]
	ds_write2_b64 v96, v[15:16], v[19:20] offset1:1
	ds_write_b128 v12, v[0:3] offset:9984
	ds_read_b128 v[0:3], v95
	ds_read_b128 v[13:16], v12 offset:9216
	s_waitcnt lgkmcnt(0)
	v_add_f64 v[17:18], v[0:1], -v[13:14]
	v_add_f64 v[19:20], v[2:3], v[15:16]
	v_add_f64 v[2:3], v[2:3], -v[15:16]
	v_add_f64 v[0:1], v[0:1], v[13:14]
	v_mul_f64 v[15:16], v[17:18], 0.5
	v_mul_f64 v[17:18], v[19:20], 0.5
	;; [unrolled: 1-line block ×3, first 2 shown]
	v_lshlrev_b64 v[19:20], 4, v[86:87]
	v_add_u32_e32 v86, 0x150, v82
	s_waitcnt vmcnt(1)
	v_mul_f64 v[13:14], v[15:16], v[6:7]
	v_fma_f64 v[21:22], v[17:18], v[6:7], v[2:3]
	v_fma_f64 v[6:7], v[17:18], v[6:7], -v[2:3]
	v_fma_f64 v[23:24], v[0:1], 0.5, v[13:14]
	v_fma_f64 v[13:14], v[0:1], 0.5, -v[13:14]
	v_add_co_u32_e64 v0, s[0:1], s6, v19
	v_addc_co_u32_e64 v1, s[0:1], v25, v20, s[0:1]
	global_load_dwordx4 v[0:3], v[0:1], off
	v_fma_f64 v[19:20], -v[4:5], v[15:16], v[21:22]
	v_fma_f64 v[6:7], -v[4:5], v[15:16], v[6:7]
	v_fma_f64 v[15:16], v[17:18], v[4:5], v[23:24]
	v_fma_f64 v[4:5], -v[17:18], v[4:5], v[13:14]
	ds_write2_b64 v95, v[15:16], v[19:20] offset1:1
	ds_write_b128 v12, v[4:7] offset:9216
	ds_read_b128 v[4:7], v94
	ds_read_b128 v[13:16], v12 offset:8448
	s_waitcnt lgkmcnt(0)
	v_add_f64 v[17:18], v[4:5], -v[13:14]
	v_add_f64 v[19:20], v[6:7], v[15:16]
	v_add_f64 v[6:7], v[6:7], -v[15:16]
	v_add_f64 v[4:5], v[4:5], v[13:14]
	v_mul_f64 v[15:16], v[17:18], 0.5
	v_mul_f64 v[17:18], v[19:20], 0.5
	;; [unrolled: 1-line block ×3, first 2 shown]
	v_lshlrev_b64 v[19:20], 4, v[86:87]
	s_waitcnt vmcnt(1)
	v_mul_f64 v[13:14], v[15:16], v[10:11]
	v_fma_f64 v[21:22], v[17:18], v[10:11], v[6:7]
	v_fma_f64 v[10:11], v[17:18], v[10:11], -v[6:7]
	v_fma_f64 v[23:24], v[4:5], 0.5, v[13:14]
	v_fma_f64 v[13:14], v[4:5], 0.5, -v[13:14]
	v_add_co_u32_e64 v4, s[0:1], s6, v19
	v_addc_co_u32_e64 v5, s[0:1], v25, v20, s[0:1]
	global_load_dwordx4 v[4:7], v[4:5], off
	v_fma_f64 v[19:20], -v[8:9], v[15:16], v[21:22]
	v_fma_f64 v[10:11], -v[8:9], v[15:16], v[10:11]
	v_fma_f64 v[15:16], v[17:18], v[8:9], v[23:24]
	v_fma_f64 v[8:9], -v[17:18], v[8:9], v[13:14]
	ds_write2_b64 v94, v[15:16], v[19:20] offset1:1
	ds_write_b128 v12, v[8:11] offset:8448
	ds_read_b128 v[8:11], v93 offset:4608
	ds_read_b128 v[13:16], v12 offset:7680
	s_waitcnt lgkmcnt(0)
	v_add_f64 v[17:18], v[8:9], -v[13:14]
	v_add_f64 v[19:20], v[10:11], v[15:16]
	v_add_f64 v[10:11], v[10:11], -v[15:16]
	v_add_f64 v[8:9], v[8:9], v[13:14]
	v_mul_f64 v[15:16], v[17:18], 0.5
	v_mul_f64 v[17:18], v[19:20], 0.5
	;; [unrolled: 1-line block ×3, first 2 shown]
	s_waitcnt vmcnt(1)
	v_mul_f64 v[13:14], v[15:16], v[2:3]
	v_fma_f64 v[19:20], v[17:18], v[2:3], v[10:11]
	v_fma_f64 v[2:3], v[17:18], v[2:3], -v[10:11]
	v_fma_f64 v[10:11], v[8:9], 0.5, v[13:14]
	v_fma_f64 v[8:9], v[8:9], 0.5, -v[13:14]
	v_fma_f64 v[13:14], -v[0:1], v[15:16], v[19:20]
	v_fma_f64 v[2:3], -v[0:1], v[15:16], v[2:3]
	v_fma_f64 v[10:11], v[17:18], v[0:1], v[10:11]
	v_fma_f64 v[0:1], -v[17:18], v[0:1], v[8:9]
	v_add_u32_e32 v17, 0x1000, v93
	ds_write2_b64 v17, v[10:11], v[13:14] offset0:64 offset1:65
	ds_write_b128 v12, v[0:3] offset:7680
	ds_read_b128 v[0:3], v93 offset:5376
	ds_read_b128 v[8:11], v12 offset:6912
	s_waitcnt lgkmcnt(0)
	v_add_f64 v[13:14], v[0:1], -v[8:9]
	v_add_f64 v[15:16], v[2:3], v[10:11]
	v_add_f64 v[2:3], v[2:3], -v[10:11]
	v_add_f64 v[0:1], v[0:1], v[8:9]
	v_mul_f64 v[10:11], v[13:14], 0.5
	v_mul_f64 v[13:14], v[15:16], 0.5
	;; [unrolled: 1-line block ×3, first 2 shown]
	s_waitcnt vmcnt(0)
	v_mul_f64 v[8:9], v[10:11], v[6:7]
	v_fma_f64 v[15:16], v[13:14], v[6:7], v[2:3]
	v_fma_f64 v[2:3], v[13:14], v[6:7], -v[2:3]
	v_fma_f64 v[6:7], v[0:1], 0.5, v[8:9]
	v_fma_f64 v[0:1], v[0:1], 0.5, -v[8:9]
	v_fma_f64 v[8:9], -v[4:5], v[10:11], v[15:16]
	v_fma_f64 v[2:3], -v[4:5], v[10:11], v[2:3]
	v_fma_f64 v[6:7], v[13:14], v[4:5], v[6:7]
	v_fma_f64 v[0:1], -v[13:14], v[4:5], v[0:1]
	ds_write2_b64 v17, v[6:7], v[8:9] offset0:160 offset1:161
	ds_write_b128 v12, v[0:3] offset:6912
	s_waitcnt lgkmcnt(0)
	; wave barrier
	s_waitcnt lgkmcnt(0)
	s_and_saveexec_b64 s[0:1], vcc
	s_cbranch_execz .LBB0_24
; %bb.22:
	v_mul_lo_u32 v2, s3, v84
	v_mul_lo_u32 v3, s2, v85
	v_mad_u64_u32 v[0:1], s[0:1], s2, v84, 0
	v_mov_b32_e32 v6, s11
	v_lshl_add_u32 v12, v82, 4, 0
	v_add3_u32 v1, v1, v3, v2
	v_lshlrev_b64 v[0:1], 4, v[0:1]
	v_mov_b32_e32 v83, v87
	v_add_co_u32_e32 v0, vcc, s10, v0
	v_addc_co_u32_e32 v8, vcc, v6, v1, vcc
	v_lshlrev_b64 v[6:7], 4, v[80:81]
	ds_read_b128 v[2:5], v12
	v_add_co_u32_e32 v1, vcc, v0, v6
	v_addc_co_u32_e32 v0, vcc, v8, v7, vcc
	v_lshlrev_b64 v[6:7], 4, v[82:83]
	v_add_u32_e32 v86, 48, v82
	v_add_co_u32_e32 v10, vcc, v1, v6
	v_addc_co_u32_e32 v11, vcc, v0, v7, vcc
	ds_read_b128 v[6:9], v12 offset:768
	s_waitcnt lgkmcnt(1)
	global_store_dwordx4 v[10:11], v[2:5], off
	s_nop 0
	v_lshlrev_b64 v[2:3], 4, v[86:87]
	v_add_u32_e32 v86, 0x60, v82
	v_add_co_u32_e32 v2, vcc, v1, v2
	v_addc_co_u32_e32 v3, vcc, v0, v3, vcc
	s_waitcnt lgkmcnt(0)
	global_store_dwordx4 v[2:3], v[6:9], off
	ds_read_b128 v[2:5], v12 offset:1536
	v_lshlrev_b64 v[6:7], 4, v[86:87]
	v_add_u32_e32 v86, 0x90, v82
	v_add_co_u32_e32 v10, vcc, v1, v6
	v_addc_co_u32_e32 v11, vcc, v0, v7, vcc
	ds_read_b128 v[6:9], v12 offset:2304
	s_waitcnt lgkmcnt(1)
	global_store_dwordx4 v[10:11], v[2:5], off
	s_nop 0
	v_lshlrev_b64 v[2:3], 4, v[86:87]
	v_add_u32_e32 v86, 0xc0, v82
	v_add_co_u32_e32 v2, vcc, v1, v2
	v_addc_co_u32_e32 v3, vcc, v0, v3, vcc
	s_waitcnt lgkmcnt(0)
	global_store_dwordx4 v[2:3], v[6:9], off
	ds_read_b128 v[2:5], v12 offset:3072
	;; [unrolled: 15-line block ×7, first 2 shown]
	v_lshlrev_b64 v[6:7], 4, v[86:87]
	v_add_u32_e32 v86, 0x2d0, v82
	v_add_co_u32_e32 v10, vcc, v1, v6
	v_addc_co_u32_e32 v11, vcc, v0, v7, vcc
	ds_read_b128 v[6:9], v12 offset:11520
	s_waitcnt lgkmcnt(1)
	global_store_dwordx4 v[10:11], v[2:5], off
	s_nop 0
	v_lshlrev_b64 v[2:3], 4, v[86:87]
	v_add_co_u32_e32 v2, vcc, v1, v2
	v_addc_co_u32_e32 v3, vcc, v0, v3, vcc
	v_cmp_eq_u32_e32 vcc, 47, v82
	s_waitcnt lgkmcnt(0)
	global_store_dwordx4 v[2:3], v[6:9], off
	s_and_b64 exec, exec, vcc
	s_cbranch_execz .LBB0_24
; %bb.23:
	v_mov_b32_e32 v2, 0
	ds_read_b128 v[2:5], v2 offset:12288
	v_add_co_u32_e32 v6, vcc, 0x3000, v1
	v_addc_co_u32_e32 v7, vcc, 0, v0, vcc
	s_waitcnt lgkmcnt(0)
	global_store_dwordx4 v[6:7], v[2:5], off
.LBB0_24:
	s_endpgm
	.section	.rodata,"a",@progbits
	.p2align	6, 0x0
	.amdhsa_kernel fft_rtc_fwd_len768_factors_16_3_16_wgs_48_tpt_48_halfLds_dp_op_CI_CI_unitstride_sbrr_R2C_dirReg
		.amdhsa_group_segment_fixed_size 0
		.amdhsa_private_segment_fixed_size 0
		.amdhsa_kernarg_size 104
		.amdhsa_user_sgpr_count 6
		.amdhsa_user_sgpr_private_segment_buffer 1
		.amdhsa_user_sgpr_dispatch_ptr 0
		.amdhsa_user_sgpr_queue_ptr 0
		.amdhsa_user_sgpr_kernarg_segment_ptr 1
		.amdhsa_user_sgpr_dispatch_id 0
		.amdhsa_user_sgpr_flat_scratch_init 0
		.amdhsa_user_sgpr_private_segment_size 0
		.amdhsa_uses_dynamic_stack 0
		.amdhsa_system_sgpr_private_segment_wavefront_offset 0
		.amdhsa_system_sgpr_workgroup_id_x 1
		.amdhsa_system_sgpr_workgroup_id_y 0
		.amdhsa_system_sgpr_workgroup_id_z 0
		.amdhsa_system_sgpr_workgroup_info 0
		.amdhsa_system_vgpr_workitem_id 0
		.amdhsa_next_free_vgpr 123
		.amdhsa_next_free_sgpr 28
		.amdhsa_reserve_vcc 1
		.amdhsa_reserve_flat_scratch 0
		.amdhsa_float_round_mode_32 0
		.amdhsa_float_round_mode_16_64 0
		.amdhsa_float_denorm_mode_32 3
		.amdhsa_float_denorm_mode_16_64 3
		.amdhsa_dx10_clamp 1
		.amdhsa_ieee_mode 1
		.amdhsa_fp16_overflow 0
		.amdhsa_exception_fp_ieee_invalid_op 0
		.amdhsa_exception_fp_denorm_src 0
		.amdhsa_exception_fp_ieee_div_zero 0
		.amdhsa_exception_fp_ieee_overflow 0
		.amdhsa_exception_fp_ieee_underflow 0
		.amdhsa_exception_fp_ieee_inexact 0
		.amdhsa_exception_int_div_zero 0
	.end_amdhsa_kernel
	.text
.Lfunc_end0:
	.size	fft_rtc_fwd_len768_factors_16_3_16_wgs_48_tpt_48_halfLds_dp_op_CI_CI_unitstride_sbrr_R2C_dirReg, .Lfunc_end0-fft_rtc_fwd_len768_factors_16_3_16_wgs_48_tpt_48_halfLds_dp_op_CI_CI_unitstride_sbrr_R2C_dirReg
                                        ; -- End function
	.section	.AMDGPU.csdata,"",@progbits
; Kernel info:
; codeLenInByte = 9940
; NumSgprs: 32
; NumVgprs: 123
; ScratchSize: 0
; MemoryBound: 0
; FloatMode: 240
; IeeeMode: 1
; LDSByteSize: 0 bytes/workgroup (compile time only)
; SGPRBlocks: 3
; VGPRBlocks: 30
; NumSGPRsForWavesPerEU: 32
; NumVGPRsForWavesPerEU: 123
; Occupancy: 2
; WaveLimiterHint : 1
; COMPUTE_PGM_RSRC2:SCRATCH_EN: 0
; COMPUTE_PGM_RSRC2:USER_SGPR: 6
; COMPUTE_PGM_RSRC2:TRAP_HANDLER: 0
; COMPUTE_PGM_RSRC2:TGID_X_EN: 1
; COMPUTE_PGM_RSRC2:TGID_Y_EN: 0
; COMPUTE_PGM_RSRC2:TGID_Z_EN: 0
; COMPUTE_PGM_RSRC2:TIDIG_COMP_CNT: 0
	.type	__hip_cuid_9a4dcb4cdc68fd1f,@object ; @__hip_cuid_9a4dcb4cdc68fd1f
	.section	.bss,"aw",@nobits
	.globl	__hip_cuid_9a4dcb4cdc68fd1f
__hip_cuid_9a4dcb4cdc68fd1f:
	.byte	0                               ; 0x0
	.size	__hip_cuid_9a4dcb4cdc68fd1f, 1

	.ident	"AMD clang version 19.0.0git (https://github.com/RadeonOpenCompute/llvm-project roc-6.4.0 25133 c7fe45cf4b819c5991fe208aaa96edf142730f1d)"
	.section	".note.GNU-stack","",@progbits
	.addrsig
	.addrsig_sym __hip_cuid_9a4dcb4cdc68fd1f
	.amdgpu_metadata
---
amdhsa.kernels:
  - .args:
      - .actual_access:  read_only
        .address_space:  global
        .offset:         0
        .size:           8
        .value_kind:     global_buffer
      - .offset:         8
        .size:           8
        .value_kind:     by_value
      - .actual_access:  read_only
        .address_space:  global
        .offset:         16
        .size:           8
        .value_kind:     global_buffer
      - .actual_access:  read_only
        .address_space:  global
        .offset:         24
        .size:           8
        .value_kind:     global_buffer
      - .actual_access:  read_only
        .address_space:  global
        .offset:         32
        .size:           8
        .value_kind:     global_buffer
      - .offset:         40
        .size:           8
        .value_kind:     by_value
      - .actual_access:  read_only
        .address_space:  global
        .offset:         48
        .size:           8
        .value_kind:     global_buffer
      - .actual_access:  read_only
        .address_space:  global
        .offset:         56
        .size:           8
        .value_kind:     global_buffer
      - .offset:         64
        .size:           4
        .value_kind:     by_value
      - .actual_access:  read_only
        .address_space:  global
        .offset:         72
        .size:           8
        .value_kind:     global_buffer
      - .actual_access:  read_only
        .address_space:  global
        .offset:         80
        .size:           8
        .value_kind:     global_buffer
      - .actual_access:  read_only
        .address_space:  global
        .offset:         88
        .size:           8
        .value_kind:     global_buffer
      - .actual_access:  write_only
        .address_space:  global
        .offset:         96
        .size:           8
        .value_kind:     global_buffer
    .group_segment_fixed_size: 0
    .kernarg_segment_align: 8
    .kernarg_segment_size: 104
    .language:       OpenCL C
    .language_version:
      - 2
      - 0
    .max_flat_workgroup_size: 48
    .name:           fft_rtc_fwd_len768_factors_16_3_16_wgs_48_tpt_48_halfLds_dp_op_CI_CI_unitstride_sbrr_R2C_dirReg
    .private_segment_fixed_size: 0
    .sgpr_count:     32
    .sgpr_spill_count: 0
    .symbol:         fft_rtc_fwd_len768_factors_16_3_16_wgs_48_tpt_48_halfLds_dp_op_CI_CI_unitstride_sbrr_R2C_dirReg.kd
    .uniform_work_group_size: 1
    .uses_dynamic_stack: false
    .vgpr_count:     123
    .vgpr_spill_count: 0
    .wavefront_size: 64
amdhsa.target:   amdgcn-amd-amdhsa--gfx906
amdhsa.version:
  - 1
  - 2
...

	.end_amdgpu_metadata
